;; amdgpu-corpus repo=ROCm/rocFFT kind=compiled arch=gfx1030 opt=O3
	.text
	.amdgcn_target "amdgcn-amd-amdhsa--gfx1030"
	.amdhsa_code_object_version 6
	.protected	fft_rtc_back_len44_factors_11_4_wgs_64_tpt_4_halfLds_dp_ip_CI_unitstride_sbrr_dirReg ; -- Begin function fft_rtc_back_len44_factors_11_4_wgs_64_tpt_4_halfLds_dp_ip_CI_unitstride_sbrr_dirReg
	.globl	fft_rtc_back_len44_factors_11_4_wgs_64_tpt_4_halfLds_dp_ip_CI_unitstride_sbrr_dirReg
	.p2align	8
	.type	fft_rtc_back_len44_factors_11_4_wgs_64_tpt_4_halfLds_dp_ip_CI_unitstride_sbrr_dirReg,@function
fft_rtc_back_len44_factors_11_4_wgs_64_tpt_4_halfLds_dp_ip_CI_unitstride_sbrr_dirReg: ; @fft_rtc_back_len44_factors_11_4_wgs_64_tpt_4_halfLds_dp_ip_CI_unitstride_sbrr_dirReg
; %bb.0:
	s_clause 0x2
	s_load_dwordx4 s[8:11], s[4:5], 0x0
	s_load_dwordx2 s[2:3], s[4:5], 0x50
	s_load_dwordx2 s[12:13], s[4:5], 0x18
	v_lshrrev_b32_e32 v48, 2, v0
	v_mov_b32_e32 v3, 0
	v_mov_b32_e32 v1, 0
	;; [unrolled: 1-line block ×3, first 2 shown]
	v_lshl_or_b32 v5, s6, 4, v48
	v_mov_b32_e32 v6, v3
	s_waitcnt lgkmcnt(0)
	v_cmp_lt_u64_e64 s0, s[10:11], 2
	s_and_b32 vcc_lo, exec_lo, s0
	s_cbranch_vccnz .LBB0_8
; %bb.1:
	s_load_dwordx2 s[0:1], s[4:5], 0x10
	v_mov_b32_e32 v1, 0
	s_add_u32 s6, s12, 8
	v_mov_b32_e32 v2, 0
	s_addc_u32 s7, s13, 0
	s_mov_b64 s[16:17], 1
	s_waitcnt lgkmcnt(0)
	s_add_u32 s14, s0, 8
	s_addc_u32 s15, s1, 0
.LBB0_2:                                ; =>This Inner Loop Header: Depth=1
	s_load_dwordx2 s[18:19], s[14:15], 0x0
                                        ; implicit-def: $vgpr7_vgpr8
	s_mov_b32 s0, exec_lo
	s_waitcnt lgkmcnt(0)
	v_or_b32_e32 v4, s19, v6
	v_cmpx_ne_u64_e32 0, v[3:4]
	s_xor_b32 s1, exec_lo, s0
	s_cbranch_execz .LBB0_4
; %bb.3:                                ;   in Loop: Header=BB0_2 Depth=1
	v_cvt_f32_u32_e32 v4, s18
	v_cvt_f32_u32_e32 v7, s19
	s_sub_u32 s0, 0, s18
	s_subb_u32 s20, 0, s19
	v_fmac_f32_e32 v4, 0x4f800000, v7
	v_rcp_f32_e32 v4, v4
	v_mul_f32_e32 v4, 0x5f7ffffc, v4
	v_mul_f32_e32 v7, 0x2f800000, v4
	v_trunc_f32_e32 v7, v7
	v_fmac_f32_e32 v4, 0xcf800000, v7
	v_cvt_u32_f32_e32 v7, v7
	v_cvt_u32_f32_e32 v4, v4
	v_mul_lo_u32 v8, s0, v7
	v_mul_hi_u32 v9, s0, v4
	v_mul_lo_u32 v10, s20, v4
	v_add_nc_u32_e32 v8, v9, v8
	v_mul_lo_u32 v9, s0, v4
	v_add_nc_u32_e32 v8, v8, v10
	v_mul_hi_u32 v10, v4, v9
	v_mul_lo_u32 v11, v4, v8
	v_mul_hi_u32 v12, v4, v8
	v_mul_hi_u32 v13, v7, v9
	v_mul_lo_u32 v9, v7, v9
	v_mul_hi_u32 v14, v7, v8
	v_mul_lo_u32 v8, v7, v8
	v_add_co_u32 v10, vcc_lo, v10, v11
	v_add_co_ci_u32_e32 v11, vcc_lo, 0, v12, vcc_lo
	v_add_co_u32 v9, vcc_lo, v10, v9
	v_add_co_ci_u32_e32 v9, vcc_lo, v11, v13, vcc_lo
	v_add_co_ci_u32_e32 v10, vcc_lo, 0, v14, vcc_lo
	v_add_co_u32 v8, vcc_lo, v9, v8
	v_add_co_ci_u32_e32 v9, vcc_lo, 0, v10, vcc_lo
	v_add_co_u32 v4, vcc_lo, v4, v8
	v_add_co_ci_u32_e32 v7, vcc_lo, v7, v9, vcc_lo
	v_mul_hi_u32 v8, s0, v4
	v_mul_lo_u32 v10, s20, v4
	v_mul_lo_u32 v9, s0, v7
	v_add_nc_u32_e32 v8, v8, v9
	v_mul_lo_u32 v9, s0, v4
	v_add_nc_u32_e32 v8, v8, v10
	v_mul_hi_u32 v10, v4, v9
	v_mul_lo_u32 v11, v4, v8
	v_mul_hi_u32 v12, v4, v8
	v_mul_hi_u32 v13, v7, v9
	v_mul_lo_u32 v9, v7, v9
	v_mul_hi_u32 v14, v7, v8
	v_mul_lo_u32 v8, v7, v8
	v_add_co_u32 v10, vcc_lo, v10, v11
	v_add_co_ci_u32_e32 v11, vcc_lo, 0, v12, vcc_lo
	v_add_co_u32 v9, vcc_lo, v10, v9
	v_add_co_ci_u32_e32 v9, vcc_lo, v11, v13, vcc_lo
	v_add_co_ci_u32_e32 v10, vcc_lo, 0, v14, vcc_lo
	v_add_co_u32 v8, vcc_lo, v9, v8
	v_add_co_ci_u32_e32 v9, vcc_lo, 0, v10, vcc_lo
	v_add_co_u32 v4, vcc_lo, v4, v8
	v_add_co_ci_u32_e32 v11, vcc_lo, v7, v9, vcc_lo
	v_mul_hi_u32 v13, v5, v4
	v_mad_u64_u32 v[9:10], null, v6, v4, 0
	v_mad_u64_u32 v[7:8], null, v5, v11, 0
	;; [unrolled: 1-line block ×3, first 2 shown]
	v_add_co_u32 v4, vcc_lo, v13, v7
	v_add_co_ci_u32_e32 v7, vcc_lo, 0, v8, vcc_lo
	v_add_co_u32 v4, vcc_lo, v4, v9
	v_add_co_ci_u32_e32 v4, vcc_lo, v7, v10, vcc_lo
	v_add_co_ci_u32_e32 v7, vcc_lo, 0, v12, vcc_lo
	v_add_co_u32 v4, vcc_lo, v4, v11
	v_add_co_ci_u32_e32 v9, vcc_lo, 0, v7, vcc_lo
	v_mul_lo_u32 v10, s19, v4
	v_mad_u64_u32 v[7:8], null, s18, v4, 0
	v_mul_lo_u32 v11, s18, v9
	v_sub_co_u32 v7, vcc_lo, v5, v7
	v_add3_u32 v8, v8, v11, v10
	v_sub_nc_u32_e32 v10, v6, v8
	v_subrev_co_ci_u32_e64 v10, s0, s19, v10, vcc_lo
	v_add_co_u32 v11, s0, v4, 2
	v_add_co_ci_u32_e64 v12, s0, 0, v9, s0
	v_sub_co_u32 v13, s0, v7, s18
	v_sub_co_ci_u32_e32 v8, vcc_lo, v6, v8, vcc_lo
	v_subrev_co_ci_u32_e64 v10, s0, 0, v10, s0
	v_cmp_le_u32_e32 vcc_lo, s18, v13
	v_cmp_eq_u32_e64 s0, s19, v8
	v_cndmask_b32_e64 v13, 0, -1, vcc_lo
	v_cmp_le_u32_e32 vcc_lo, s19, v10
	v_cndmask_b32_e64 v14, 0, -1, vcc_lo
	v_cmp_le_u32_e32 vcc_lo, s18, v7
	;; [unrolled: 2-line block ×3, first 2 shown]
	v_cndmask_b32_e64 v15, 0, -1, vcc_lo
	v_cmp_eq_u32_e32 vcc_lo, s19, v10
	v_cndmask_b32_e64 v7, v15, v7, s0
	v_cndmask_b32_e32 v10, v14, v13, vcc_lo
	v_add_co_u32 v13, vcc_lo, v4, 1
	v_add_co_ci_u32_e32 v14, vcc_lo, 0, v9, vcc_lo
	v_cmp_ne_u32_e32 vcc_lo, 0, v10
	v_cndmask_b32_e32 v8, v14, v12, vcc_lo
	v_cndmask_b32_e32 v10, v13, v11, vcc_lo
	v_cmp_ne_u32_e32 vcc_lo, 0, v7
	v_cndmask_b32_e32 v8, v9, v8, vcc_lo
	v_cndmask_b32_e32 v7, v4, v10, vcc_lo
.LBB0_4:                                ;   in Loop: Header=BB0_2 Depth=1
	s_andn2_saveexec_b32 s0, s1
	s_cbranch_execz .LBB0_6
; %bb.5:                                ;   in Loop: Header=BB0_2 Depth=1
	v_cvt_f32_u32_e32 v4, s18
	s_sub_i32 s1, 0, s18
	v_rcp_iflag_f32_e32 v4, v4
	v_mul_f32_e32 v4, 0x4f7ffffe, v4
	v_cvt_u32_f32_e32 v4, v4
	v_mul_lo_u32 v7, s1, v4
	v_mul_hi_u32 v7, v4, v7
	v_add_nc_u32_e32 v4, v4, v7
	v_mul_hi_u32 v4, v5, v4
	v_mul_lo_u32 v7, v4, s18
	v_add_nc_u32_e32 v8, 1, v4
	v_sub_nc_u32_e32 v7, v5, v7
	v_subrev_nc_u32_e32 v9, s18, v7
	v_cmp_le_u32_e32 vcc_lo, s18, v7
	v_cndmask_b32_e32 v7, v7, v9, vcc_lo
	v_cndmask_b32_e32 v4, v4, v8, vcc_lo
	v_cmp_le_u32_e32 vcc_lo, s18, v7
	v_add_nc_u32_e32 v8, 1, v4
	v_cndmask_b32_e32 v7, v4, v8, vcc_lo
	v_mov_b32_e32 v8, v3
.LBB0_6:                                ;   in Loop: Header=BB0_2 Depth=1
	s_or_b32 exec_lo, exec_lo, s0
	s_load_dwordx2 s[0:1], s[6:7], 0x0
	v_mul_lo_u32 v4, v8, s18
	v_mul_lo_u32 v11, v7, s19
	v_mad_u64_u32 v[9:10], null, v7, s18, 0
	s_add_u32 s16, s16, 1
	s_addc_u32 s17, s17, 0
	s_add_u32 s6, s6, 8
	s_addc_u32 s7, s7, 0
	;; [unrolled: 2-line block ×3, first 2 shown]
	v_add3_u32 v4, v10, v11, v4
	v_sub_co_u32 v5, vcc_lo, v5, v9
	v_sub_co_ci_u32_e32 v4, vcc_lo, v6, v4, vcc_lo
	s_waitcnt lgkmcnt(0)
	v_mul_lo_u32 v6, s1, v5
	v_mul_lo_u32 v4, s0, v4
	v_mad_u64_u32 v[1:2], null, s0, v5, v[1:2]
	v_cmp_ge_u64_e64 s0, s[16:17], s[10:11]
	s_and_b32 vcc_lo, exec_lo, s0
	v_add3_u32 v2, v6, v2, v4
	s_cbranch_vccnz .LBB0_9
; %bb.7:                                ;   in Loop: Header=BB0_2 Depth=1
	v_mov_b32_e32 v5, v7
	v_mov_b32_e32 v6, v8
	s_branch .LBB0_2
.LBB0_8:
	v_mov_b32_e32 v8, v6
	v_mov_b32_e32 v7, v5
.LBB0_9:
	s_lshl_b64 s[0:1], s[10:11], 3
	v_and_b32_e32 v72, 3, v0
	s_add_u32 s0, s12, s0
	s_addc_u32 s1, s13, s1
	s_load_dwordx2 s[0:1], s[0:1], 0x0
	s_load_dwordx2 s[4:5], s[4:5], 0x20
	v_or_b32_e32 v73, 4, v72
	v_or_b32_e32 v70, 8, v72
	s_waitcnt lgkmcnt(0)
	v_mul_lo_u32 v3, s0, v8
	v_mul_lo_u32 v4, s1, v7
	v_mad_u64_u32 v[1:2], null, s0, v7, v[1:2]
	v_cmp_gt_u64_e32 vcc_lo, s[4:5], v[7:8]
	v_cmp_le_u64_e64 s0, s[4:5], v[7:8]
	v_add3_u32 v2, v4, v2, v3
	s_and_saveexec_b32 s1, s0
	s_xor_b32 s0, exec_lo, s1
; %bb.10:
	v_or_b32_e32 v73, 4, v72
	v_or_b32_e32 v70, 8, v72
; %bb.11:
	s_or_saveexec_b32 s1, s0
	v_lshlrev_b64 v[60:61], 4, v[1:2]
	v_lshlrev_b32_e32 v71, 4, v72
                                        ; implicit-def: $vgpr38_vgpr39
                                        ; implicit-def: $vgpr34_vgpr35
                                        ; implicit-def: $vgpr26_vgpr27
                                        ; implicit-def: $vgpr22_vgpr23
                                        ; implicit-def: $vgpr6_vgpr7
                                        ; implicit-def: $vgpr10_vgpr11
                                        ; implicit-def: $vgpr14_vgpr15
                                        ; implicit-def: $vgpr18_vgpr19
                                        ; implicit-def: $vgpr30_vgpr31
                                        ; implicit-def: $vgpr42_vgpr43
                                        ; implicit-def: $vgpr2_vgpr3
	s_xor_b32 exec_lo, exec_lo, s1
; %bb.12:
	v_add_co_u32 v0, s0, s2, v60
	v_add_co_ci_u32_e64 v1, s0, s3, v61, s0
	v_add_co_u32 v8, s0, v0, v71
	v_add_co_ci_u32_e64 v9, s0, 0, v1, s0
	s_clause 0xa
	global_load_dwordx4 v[0:3], v[8:9], off
	global_load_dwordx4 v[36:39], v[8:9], off offset:64
	global_load_dwordx4 v[32:35], v[8:9], off offset:128
	;; [unrolled: 1-line block ×10, first 2 shown]
; %bb.13:
	s_or_b32 exec_lo, exec_lo, s1
	s_waitcnt vmcnt(9)
	v_add_f64 v[44:45], v[36:37], v[0:1]
	s_waitcnt vmcnt(0)
	v_add_f64 v[46:47], v[38:39], -v[10:11]
	s_mov_b32 s24, 0x8eee2c13
	s_mov_b32 s16, 0x43842ef
	s_mov_b32 s25, 0xbfed1bb4
	s_mov_b32 s20, 0xbb3a28a1
	s_mov_b32 s17, 0xbfefac9e
	s_mov_b32 s22, 0xfd768dbf
	s_mov_b32 s21, 0xbfe82f19
	s_mov_b32 s23, 0xbfd207e7
	v_add_f64 v[49:50], v[36:37], v[8:9]
	v_add_f64 v[51:52], v[34:35], -v[6:7]
	s_mov_b32 s34, 0xf8bb580b
	s_mov_b32 s35, 0xbfe14ced
	;; [unrolled: 1-line block ×10, first 2 shown]
	v_add_f64 v[44:45], v[32:33], v[44:45]
	v_mul_f64 v[74:75], v[46:47], s[24:25]
	v_mul_f64 v[78:79], v[46:47], s[16:17]
	;; [unrolled: 1-line block ×5, first 2 shown]
	s_mov_b32 s27, 0x3fe14ced
	s_mov_b32 s30, s22
	;; [unrolled: 1-line block ×6, first 2 shown]
	v_add_f64 v[53:54], v[32:33], v[4:5]
	v_add_f64 v[55:56], v[42:43], -v[14:15]
	v_mul_f64 v[76:77], v[51:52], s[20:21]
	v_mul_f64 v[84:85], v[51:52], s[30:31]
	v_mul_f64 v[98:99], v[51:52], s[28:29]
	v_mul_f64 v[100:101], v[51:52], s[26:27]
	v_mul_f64 v[51:52], v[51:52], s[24:25]
	s_mov_b32 s14, 0x8764f0ba
	s_mov_b32 s15, 0x3feaeb8c
	;; [unrolled: 1-line block ×3, first 2 shown]
	v_add_f64 v[44:45], v[40:41], v[44:45]
	v_fma_f64 v[114:115], v[49:50], s[4:5], v[74:75]
	v_fma_f64 v[116:117], v[49:50], s[6:7], v[78:79]
	;; [unrolled: 1-line block ×4, first 2 shown]
	v_fma_f64 v[80:81], v[49:50], s[10:11], -v[80:81]
	v_fma_f64 v[82:83], v[49:50], s[12:13], -v[82:83]
	;; [unrolled: 1-line block ×4, first 2 shown]
	v_fma_f64 v[122:123], v[49:50], s[14:15], v[46:47]
	v_fma_f64 v[46:47], v[49:50], s[14:15], -v[46:47]
	s_mov_b32 s18, s24
	v_add_f64 v[57:58], v[12:13], v[40:41]
	v_add_f64 v[62:63], v[30:31], -v[18:19]
	v_mul_f64 v[86:87], v[55:56], s[30:31]
	v_mul_f64 v[88:89], v[55:56], s[18:19]
	;; [unrolled: 1-line block ×5, first 2 shown]
	v_fma_f64 v[55:56], v[53:54], s[10:11], v[76:77]
	v_fma_f64 v[124:125], v[53:54], s[12:13], v[84:85]
	;; [unrolled: 1-line block ×3, first 2 shown]
	v_add_f64 v[44:45], v[28:29], v[44:45]
	v_fma_f64 v[128:129], v[53:54], s[14:15], v[100:101]
	v_fma_f64 v[98:99], v[53:54], s[6:7], -v[98:99]
	v_fma_f64 v[100:101], v[53:54], s[14:15], -v[100:101]
	v_fma_f64 v[130:131], v[53:54], s[4:5], v[51:52]
	v_fma_f64 v[51:52], v[53:54], s[4:5], -v[51:52]
	v_fma_f64 v[76:77], v[53:54], s[10:11], -v[76:77]
	;; [unrolled: 1-line block ×3, first 2 shown]
	v_add_f64 v[84:85], v[114:115], v[0:1]
	v_add_f64 v[114:115], v[116:117], v[0:1]
	;; [unrolled: 1-line block ×11, first 2 shown]
	v_add_f64 v[66:67], v[26:27], -v[22:23]
	v_mul_f64 v[90:91], v[62:63], s[28:29]
	v_mul_f64 v[92:93], v[62:63], s[34:35]
	v_add_f64 v[44:45], v[24:25], v[44:45]
	v_mul_f64 v[106:107], v[62:63], s[22:23]
	v_mul_f64 v[108:109], v[62:63], s[18:19]
	;; [unrolled: 1-line block ×3, first 2 shown]
	v_fma_f64 v[62:63], v[57:58], s[12:13], v[86:87]
	v_fma_f64 v[122:123], v[57:58], s[4:5], v[88:89]
	;; [unrolled: 1-line block ×4, first 2 shown]
	v_add_f64 v[55:56], v[55:56], v[84:85]
	v_add_f64 v[84:85], v[124:125], v[114:115]
	v_fma_f64 v[102:103], v[57:58], s[14:15], -v[102:103]
	v_fma_f64 v[104:105], v[57:58], s[10:11], -v[104:105]
	v_fma_f64 v[136:137], v[57:58], s[6:7], v[49:50]
	v_fma_f64 v[49:50], v[57:58], s[6:7], -v[49:50]
	v_fma_f64 v[86:87], v[57:58], s[12:13], -v[86:87]
	;; [unrolled: 1-line block ×3, first 2 shown]
	v_add_f64 v[88:89], v[126:127], v[116:117]
	v_add_f64 v[114:115], v[128:129], v[118:119]
	;; [unrolled: 1-line block ×10, first 2 shown]
	v_mul_f64 v[94:95], v[66:67], s[26:27]
	v_mul_f64 v[96:97], v[66:67], s[20:21]
	;; [unrolled: 1-line block ×5, first 2 shown]
	v_fma_f64 v[66:67], v[64:65], s[6:7], v[90:91]
	v_fma_f64 v[76:77], v[64:65], s[14:15], v[92:93]
	v_add_f64 v[55:56], v[62:63], v[55:56]
	v_add_f64 v[62:63], v[122:123], v[84:85]
	v_fma_f64 v[78:79], v[64:65], s[12:13], v[106:107]
	v_fma_f64 v[100:101], v[64:65], s[4:5], v[108:109]
	v_fma_f64 v[106:107], v[64:65], s[12:13], -v[106:107]
	v_add_f64 v[84:85], v[132:133], v[88:89]
	v_add_f64 v[88:89], v[134:135], v[114:115]
	v_fma_f64 v[108:109], v[64:65], s[4:5], -v[108:109]
	v_add_f64 v[80:81], v[102:103], v[80:81]
	v_add_f64 v[82:83], v[104:105], v[82:83]
	v_fma_f64 v[116:117], v[64:65], s[10:11], v[46:47]
	v_add_f64 v[44:45], v[16:17], v[44:45]
	v_fma_f64 v[46:47], v[64:65], s[10:11], -v[46:47]
	v_fma_f64 v[90:91], v[64:65], s[6:7], -v[90:91]
	;; [unrolled: 1-line block ×3, first 2 shown]
	v_add_f64 v[74:75], v[86:87], v[74:75]
	v_add_f64 v[53:54], v[57:58], v[53:54]
	v_add_f64 v[0:1], v[49:50], v[0:1]
	v_add_f64 v[92:93], v[136:137], v[98:99]
	v_fma_f64 v[49:50], v[68:69], s[14:15], v[94:95]
	v_fma_f64 v[57:58], v[68:69], s[10:11], v[96:97]
	;; [unrolled: 1-line block ×3, first 2 shown]
	v_add_f64 v[55:56], v[66:67], v[55:56]
	v_add_f64 v[62:63], v[76:77], v[62:63]
	v_fma_f64 v[98:99], v[68:69], s[6:7], v[112:113]
	v_fma_f64 v[102:103], v[68:69], s[4:5], -v[110:111]
	v_fma_f64 v[104:105], v[68:69], s[6:7], -v[112:113]
	v_add_f64 v[66:67], v[78:79], v[84:85]
	v_add_f64 v[76:77], v[100:101], v[88:89]
	v_fma_f64 v[110:111], v[68:69], s[12:13], v[51:52]
	v_add_f64 v[78:79], v[106:107], v[80:81]
	v_add_f64 v[80:81], v[108:109], v[82:83]
	v_fma_f64 v[51:52], v[68:69], s[12:13], -v[51:52]
	v_add_f64 v[44:45], v[12:13], v[44:45]
	v_fma_f64 v[94:95], v[68:69], s[14:15], -v[94:95]
	v_fma_f64 v[68:69], v[68:69], s[10:11], -v[96:97]
	v_cmp_eq_u32_e64 s0, 3, v72
	v_add_f64 v[74:75], v[90:91], v[74:75]
	v_add_f64 v[53:54], v[64:65], v[53:54]
	v_add_f64 v[0:1], v[46:47], v[0:1]
	v_add_f64 v[82:83], v[116:117], v[92:93]
	v_cmp_ne_u32_e64 s1, 3, v72
	v_add_f64 v[49:50], v[49:50], v[55:56]
	v_add_f64 v[55:56], v[57:58], v[62:63]
	;; [unrolled: 1-line block ×12, first 2 shown]
	v_mul_u32_u24_e32 v64, 44, v48
	v_lshl_add_u32 v48, v64, 3, 0
	v_mad_u32_u24 v75, 0x58, v72, v48
	v_lshl_add_u32 v76, v72, 3, v48
	v_lshl_add_u32 v77, v73, 3, v48
	ds_write2_b64 v75, v[49:50], v[55:56] offset0:2 offset1:3
	ds_write2_b64 v75, v[57:58], v[66:67] offset0:4 offset1:5
	;; [unrolled: 1-line block ×4, first 2 shown]
	ds_write_b64 v75, v[46:47] offset:80
	ds_write2_b64 v75, v[0:1], v[82:83] offset1:1
	v_mad_i32_i24 v74, 0xffffffb0, v72, v75
	s_waitcnt lgkmcnt(0)
	s_barrier
	buffer_gl0_inv
	ds_read_b64 v[68:69], v76
	ds_read_b64 v[66:67], v77
	ds_read2_b64 v[52:55], v74 offset0:11 offset1:15
	ds_read2_b64 v[48:51], v74 offset0:22 offset1:26
	;; [unrolled: 1-line block ×3, first 2 shown]
	v_lshlrev_b32_e32 v78, 3, v64
	v_lshlrev_b32_e32 v79, 3, v70
                                        ; implicit-def: $vgpr64_vgpr65
	s_and_saveexec_b32 s33, s1
	s_cbranch_execz .LBB0_15
; %bb.14:
	v_add3_u32 v0, 0, v79, v78
	ds_read2_b64 v[44:47], v74 offset0:19 offset1:30
	ds_read_b64 v[62:63], v0
	ds_read_b64 v[64:65], v74 offset:328
.LBB0_15:
	s_or_b32 exec_lo, exec_lo, s33
	v_add_f64 v[0:1], v[38:39], v[2:3]
	v_add_f64 v[8:9], v[36:37], -v[8:9]
	v_add_f64 v[4:5], v[32:33], -v[4:5]
	;; [unrolled: 1-line block ×3, first 2 shown]
	v_add_f64 v[32:33], v[38:39], v[10:11]
	v_add_f64 v[16:17], v[28:29], -v[16:17]
	v_add_f64 v[28:29], v[34:35], v[6:7]
	v_add_f64 v[20:21], v[24:25], -v[20:21]
	v_add_f64 v[36:37], v[18:19], v[30:31]
	v_add_f64 v[38:39], v[26:27], v[22:23]
	s_waitcnt lgkmcnt(0)
	s_barrier
	buffer_gl0_inv
	v_add_f64 v[0:1], v[34:35], v[0:1]
	v_add_f64 v[34:35], v[14:15], v[42:43]
	v_mul_f64 v[24:25], v[8:9], s[34:35]
	v_mul_f64 v[40:41], v[8:9], s[24:25]
	;; [unrolled: 1-line block ×18, first 2 shown]
	v_add_f64 v[0:1], v[42:43], v[0:1]
	v_mul_f64 v[42:43], v[8:9], s[16:17]
	v_mul_f64 v[8:9], v[8:9], s[22:23]
	v_fma_f64 v[108:109], v[32:33], s[14:15], -v[24:25]
	v_fma_f64 v[110:111], v[32:33], s[4:5], -v[40:41]
	v_fma_f64 v[40:41], v[32:33], s[4:5], v[40:41]
	v_fma_f64 v[114:115], v[32:33], s[10:11], -v[80:81]
	v_fma_f64 v[80:81], v[32:33], s[10:11], v[80:81]
	v_fma_f64 v[24:25], v[32:33], s[14:15], v[24:25]
	v_fma_f64 v[118:119], v[28:29], s[10:11], -v[84:85]
	v_fma_f64 v[84:85], v[28:29], s[10:11], v[84:85]
	v_fma_f64 v[120:121], v[28:29], s[12:13], -v[86:87]
	;; [unrolled: 2-line block ×6, first 2 shown]
	v_fma_f64 v[94:95], v[34:35], s[14:15], v[94:95]
	v_add_f64 v[0:1], v[30:31], v[0:1]
	v_fma_f64 v[112:113], v[32:33], s[6:7], -v[42:43]
	v_fma_f64 v[116:117], v[32:33], s[12:13], -v[8:9]
	v_fma_f64 v[8:9], v[32:33], s[12:13], v[8:9]
	v_fma_f64 v[42:43], v[32:33], s[6:7], v[42:43]
	v_mul_f64 v[30:31], v[12:13], s[30:31]
	v_mul_f64 v[12:13], v[12:13], s[20:21]
	v_fma_f64 v[32:33], v[28:29], s[4:5], -v[82:83]
	v_fma_f64 v[82:83], v[28:29], s[4:5], v[82:83]
	v_add_f64 v[28:29], v[108:109], v[2:3]
	v_add_f64 v[108:109], v[110:111], v[2:3]
	;; [unrolled: 1-line block ×11, first 2 shown]
	v_fma_f64 v[24:25], v[34:35], s[6:7], -v[90:91]
	v_fma_f64 v[90:91], v[34:35], s[6:7], v[90:91]
	v_fma_f64 v[116:117], v[34:35], s[12:13], -v[30:31]
	v_fma_f64 v[30:31], v[34:35], s[12:13], v[30:31]
	;; [unrolled: 2-line block ×3, first 2 shown]
	v_add_f64 v[28:29], v[32:33], v[28:29]
	v_add_f64 v[32:33], v[118:119], v[108:109]
	;; [unrolled: 1-line block ×4, first 2 shown]
	v_mul_f64 v[26:27], v[20:21], s[20:21]
	v_fma_f64 v[108:109], v[36:37], s[4:5], -v[16:17]
	v_fma_f64 v[16:17], v[36:37], s[4:5], v[16:17]
	v_add_f64 v[0:1], v[22:23], v[0:1]
	v_add_f64 v[40:41], v[120:121], v[110:111]
	;; [unrolled: 1-line block ×7, first 2 shown]
	v_mul_f64 v[22:23], v[20:21], s[18:19]
	v_fma_f64 v[42:43], v[36:37], s[10:11], v[96:97]
	v_fma_f64 v[82:83], v[36:37], s[6:7], -v[98:99]
	v_fma_f64 v[86:87], v[36:37], s[6:7], v[98:99]
	v_fma_f64 v[98:99], v[36:37], s[14:15], v[100:101]
	v_add_f64 v[24:25], v[24:25], v[28:29]
	v_add_f64 v[28:29], v[116:117], v[32:33]
	;; [unrolled: 1-line block ×4, first 2 shown]
	v_mul_f64 v[18:19], v[20:21], s[16:17]
	v_fma_f64 v[20:21], v[36:37], s[10:11], -v[96:97]
	v_fma_f64 v[96:97], v[36:37], s[14:15], -v[100:101]
	v_add_f64 v[32:33], v[126:127], v[40:41]
	v_fma_f64 v[100:101], v[36:37], s[12:13], -v[102:103]
	v_fma_f64 v[102:103], v[36:37], s[12:13], v[102:103]
	v_add_f64 v[34:35], v[128:129], v[84:85]
	v_add_f64 v[36:37], v[94:95], v[80:81]
	;; [unrolled: 1-line block ×6, first 2 shown]
	v_fma_f64 v[12:13], v[38:39], s[12:13], -v[104:105]
	v_fma_f64 v[80:81], v[38:39], s[14:15], -v[106:107]
	;; [unrolled: 1-line block ×3, first 2 shown]
	v_fma_f64 v[84:85], v[38:39], s[14:15], v[106:107]
	v_fma_f64 v[90:91], v[38:39], s[4:5], -v[22:23]
	v_fma_f64 v[22:23], v[38:39], s[4:5], v[22:23]
	v_fma_f64 v[26:27], v[38:39], s[10:11], v[26:27]
	v_add_f64 v[0:1], v[14:15], v[0:1]
	v_fma_f64 v[92:93], v[38:39], s[6:7], -v[18:19]
	v_add_f64 v[20:21], v[20:21], v[24:25]
	v_add_f64 v[24:25], v[82:83], v[28:29]
	;; [unrolled: 1-line block ×4, first 2 shown]
	v_fma_f64 v[18:19], v[38:39], s[6:7], v[18:19]
	v_add_f64 v[32:33], v[100:101], v[34:35]
	v_add_f64 v[34:35], v[102:103], v[36:37]
	;; [unrolled: 1-line block ×5, first 2 shown]
	v_fma_f64 v[14:15], v[38:39], s[12:13], v[104:105]
	v_add_f64 v[2:3], v[42:43], v[2:3]
	v_add_f64 v[6:7], v[6:7], v[0:1]
	;; [unrolled: 1-line block ×11, first 2 shown]
                                        ; implicit-def: $vgpr18_vgpr19
	v_add_f64 v[2:3], v[14:15], v[2:3]
	v_add_f64 v[6:7], v[10:11], v[6:7]
	ds_write2_b64 v75, v[20:21], v[24:25] offset0:2 offset1:3
	ds_write2_b64 v75, v[28:29], v[30:31] offset0:4 offset1:5
	;; [unrolled: 1-line block ×4, first 2 shown]
	ds_write_b64 v75, v[2:3] offset:80
	ds_write2_b64 v75, v[6:7], v[12:13] offset1:1
	s_waitcnt lgkmcnt(0)
	s_barrier
	buffer_gl0_inv
	ds_read2_b64 v[4:7], v74 offset0:11 offset1:15
	ds_read2_b64 v[12:15], v74 offset0:22 offset1:26
	;; [unrolled: 1-line block ×3, first 2 shown]
	ds_read_b64 v[24:25], v76
	ds_read_b64 v[22:23], v77
	s_and_saveexec_b32 s4, s1
	s_cbranch_execz .LBB0_17
; %bb.16:
	v_add3_u32 v16, 0, v79, v78
	ds_read2_b64 v[0:3], v74 offset0:19 offset1:30
	ds_read_b64 v[16:17], v16
	ds_read_b64 v[18:19], v74 offset:328
.LBB0_17:
	s_or_b32 exec_lo, exec_lo, s4
	s_and_saveexec_b32 s4, vcc_lo
	s_cbranch_execz .LBB0_20
; %bb.18:
	v_mul_i32_i24_e32 v20, 3, v73
	v_mov_b32_e32 v21, 0
	v_mul_u32_u24_e32 v28, 3, v72
	v_lshlrev_b64 v[26:27], 4, v[20:21]
	v_lshlrev_b32_e32 v20, 4, v28
	v_add_co_u32 v42, vcc_lo, s8, v26
	v_add_co_ci_u32_e32 v43, vcc_lo, s9, v27, vcc_lo
	s_clause 0x5
	global_load_dwordx4 v[26:29], v20, s[8:9] offset:16
	global_load_dwordx4 v[30:33], v20, s[8:9] offset:32
	global_load_dwordx4 v[34:37], v[42:43], off offset:16
	global_load_dwordx4 v[38:41], v[42:43], off
	global_load_dwordx4 v[72:75], v[42:43], off offset:32
	global_load_dwordx4 v[76:79], v20, s[8:9]
	s_waitcnt vmcnt(5)
	v_mul_f64 v[42:43], v[48:49], v[28:29]
	s_waitcnt vmcnt(4)
	v_mul_f64 v[80:81], v[56:57], v[30:31]
	s_waitcnt lgkmcnt(3)
	v_mul_f64 v[28:29], v[12:13], v[28:29]
	v_mul_f64 v[56:57], v[56:57], v[32:33]
	s_waitcnt vmcnt(3)
	v_mul_f64 v[82:83], v[50:51], v[36:37]
	s_waitcnt vmcnt(2)
	v_mul_f64 v[84:85], v[54:55], v[38:39]
	v_mul_f64 v[54:55], v[54:55], v[40:41]
	s_waitcnt vmcnt(1)
	v_mul_f64 v[86:87], v[58:59], v[74:75]
	;; [unrolled: 3-line block ×3, first 2 shown]
	v_mul_f64 v[52:53], v[52:53], v[76:77]
	v_mul_f64 v[58:59], v[58:59], v[72:73]
	v_fma_f64 v[12:13], v[12:13], v[26:27], -v[42:43]
	s_waitcnt lgkmcnt(2)
	v_fma_f64 v[32:33], v[8:9], v[32:33], v[80:81]
	v_fma_f64 v[26:27], v[48:49], v[26:27], v[28:29]
	v_fma_f64 v[8:9], v[8:9], v[30:31], -v[56:57]
	v_fma_f64 v[14:15], v[14:15], v[34:35], -v[82:83]
	v_fma_f64 v[28:29], v[6:7], v[40:41], v[84:85]
	v_fma_f64 v[6:7], v[6:7], v[38:39], -v[54:55]
	v_fma_f64 v[30:31], v[10:11], v[72:73], -v[86:87]
	v_fma_f64 v[34:35], v[50:51], v[34:35], v[36:37]
	v_fma_f64 v[36:37], v[4:5], v[76:77], -v[88:89]
	v_fma_f64 v[4:5], v[4:5], v[78:79], v[52:53]
	v_fma_f64 v[10:11], v[10:11], v[74:75], v[58:59]
	s_waitcnt lgkmcnt(1)
	v_add_f64 v[38:39], v[24:25], -v[12:13]
	v_add_f64 v[40:41], v[68:69], -v[26:27]
	s_waitcnt lgkmcnt(0)
	v_add_f64 v[14:15], v[22:23], -v[14:15]
	v_add_f64 v[26:27], v[6:7], -v[30:31]
	;; [unrolled: 1-line block ×6, first 2 shown]
	v_fma_f64 v[42:43], v[24:25], 2.0, -v[38:39]
	v_fma_f64 v[48:49], v[68:69], 2.0, -v[40:41]
	;; [unrolled: 1-line block ×8, first 2 shown]
	v_add_f64 v[12:13], v[38:39], -v[12:13]
	v_add_f64 v[10:11], v[40:41], v[34:35]
	v_add_f64 v[8:9], v[14:15], -v[8:9]
	v_add_f64 v[6:7], v[30:31], v[26:27]
	v_add_f64 v[24:25], v[50:51], -v[22:23]
	v_add_f64 v[28:29], v[42:43], -v[32:33]
	;; [unrolled: 1-line block ×4, first 2 shown]
	v_fma_f64 v[36:37], v[38:39], 2.0, -v[12:13]
	v_fma_f64 v[34:35], v[40:41], 2.0, -v[10:11]
	;; [unrolled: 1-line block ×4, first 2 shown]
	v_add_co_u32 v4, vcc_lo, s2, v60
	v_add_co_ci_u32_e32 v5, vcc_lo, s3, v61, vcc_lo
	v_add_co_u32 v4, vcc_lo, v4, v71
	v_add_co_ci_u32_e32 v5, vcc_lo, 0, v5, vcc_lo
	v_fma_f64 v[40:41], v[50:51], 2.0, -v[24:25]
	v_fma_f64 v[50:51], v[42:43], 2.0, -v[28:29]
	;; [unrolled: 1-line block ×4, first 2 shown]
	global_store_dwordx4 v[4:5], v[10:13], off offset:528
	global_store_dwordx4 v[4:5], v[34:37], off offset:176
	;; [unrolled: 1-line block ×5, first 2 shown]
	global_store_dwordx4 v[4:5], v[48:51], off
	global_store_dwordx4 v[4:5], v[38:41], off offset:64
	global_store_dwordx4 v[4:5], v[6:9], off offset:592
	s_and_b32 exec_lo, exec_lo, s1
	s_cbranch_execz .LBB0_20
; %bb.19:
	v_mul_i32_i24_e32 v6, 3, v70
	v_cndmask_b32_e64 v20, v6, 0, s0
	v_lshlrev_b64 v[6:7], 4, v[20:21]
	v_add_co_u32 v14, vcc_lo, s8, v6
	v_add_co_ci_u32_e32 v15, vcc_lo, s9, v7, vcc_lo
	s_clause 0x2
	global_load_dwordx4 v[6:9], v[14:15], off
	global_load_dwordx4 v[10:13], v[14:15], off offset:16
	global_load_dwordx4 v[20:23], v[14:15], off offset:32
	s_waitcnt vmcnt(2)
	v_mul_f64 v[14:15], v[0:1], v[8:9]
	v_mul_f64 v[8:9], v[44:45], v[8:9]
	s_waitcnt vmcnt(1)
	v_mul_f64 v[24:25], v[2:3], v[12:13]
	v_mul_f64 v[12:13], v[46:47], v[12:13]
	;; [unrolled: 3-line block ×3, first 2 shown]
	v_fma_f64 v[14:15], v[44:45], v[6:7], v[14:15]
	v_fma_f64 v[0:1], v[0:1], v[6:7], -v[8:9]
	v_fma_f64 v[6:7], v[46:47], v[10:11], v[24:25]
	v_fma_f64 v[2:3], v[2:3], v[10:11], -v[12:13]
	;; [unrolled: 2-line block ×3, first 2 shown]
	v_add_f64 v[12:13], v[62:63], -v[6:7]
	v_add_f64 v[18:19], v[16:17], -v[2:3]
	;; [unrolled: 1-line block ×4, first 2 shown]
	v_fma_f64 v[20:21], v[62:63], 2.0, -v[12:13]
	v_fma_f64 v[16:17], v[16:17], 2.0, -v[18:19]
	;; [unrolled: 1-line block ×4, first 2 shown]
	v_add_f64 v[0:1], v[12:13], v[6:7]
	v_add_f64 v[2:3], v[18:19], -v[2:3]
	v_add_f64 v[6:7], v[20:21], -v[8:9]
	;; [unrolled: 1-line block ×3, first 2 shown]
	v_fma_f64 v[10:11], v[12:13], 2.0, -v[0:1]
	v_fma_f64 v[12:13], v[18:19], 2.0, -v[2:3]
	;; [unrolled: 1-line block ×4, first 2 shown]
	global_store_dwordx4 v[4:5], v[10:13], off offset:304
	global_store_dwordx4 v[4:5], v[6:9], off offset:480
	;; [unrolled: 1-line block ×4, first 2 shown]
.LBB0_20:
	s_endpgm
	.section	.rodata,"a",@progbits
	.p2align	6, 0x0
	.amdhsa_kernel fft_rtc_back_len44_factors_11_4_wgs_64_tpt_4_halfLds_dp_ip_CI_unitstride_sbrr_dirReg
		.amdhsa_group_segment_fixed_size 0
		.amdhsa_private_segment_fixed_size 0
		.amdhsa_kernarg_size 88
		.amdhsa_user_sgpr_count 6
		.amdhsa_user_sgpr_private_segment_buffer 1
		.amdhsa_user_sgpr_dispatch_ptr 0
		.amdhsa_user_sgpr_queue_ptr 0
		.amdhsa_user_sgpr_kernarg_segment_ptr 1
		.amdhsa_user_sgpr_dispatch_id 0
		.amdhsa_user_sgpr_flat_scratch_init 0
		.amdhsa_user_sgpr_private_segment_size 0
		.amdhsa_wavefront_size32 1
		.amdhsa_uses_dynamic_stack 0
		.amdhsa_system_sgpr_private_segment_wavefront_offset 0
		.amdhsa_system_sgpr_workgroup_id_x 1
		.amdhsa_system_sgpr_workgroup_id_y 0
		.amdhsa_system_sgpr_workgroup_id_z 0
		.amdhsa_system_sgpr_workgroup_info 0
		.amdhsa_system_vgpr_workitem_id 0
		.amdhsa_next_free_vgpr 138
		.amdhsa_next_free_sgpr 36
		.amdhsa_reserve_vcc 1
		.amdhsa_reserve_flat_scratch 0
		.amdhsa_float_round_mode_32 0
		.amdhsa_float_round_mode_16_64 0
		.amdhsa_float_denorm_mode_32 3
		.amdhsa_float_denorm_mode_16_64 3
		.amdhsa_dx10_clamp 1
		.amdhsa_ieee_mode 1
		.amdhsa_fp16_overflow 0
		.amdhsa_workgroup_processor_mode 1
		.amdhsa_memory_ordered 1
		.amdhsa_forward_progress 0
		.amdhsa_shared_vgpr_count 0
		.amdhsa_exception_fp_ieee_invalid_op 0
		.amdhsa_exception_fp_denorm_src 0
		.amdhsa_exception_fp_ieee_div_zero 0
		.amdhsa_exception_fp_ieee_overflow 0
		.amdhsa_exception_fp_ieee_underflow 0
		.amdhsa_exception_fp_ieee_inexact 0
		.amdhsa_exception_int_div_zero 0
	.end_amdhsa_kernel
	.text
.Lfunc_end0:
	.size	fft_rtc_back_len44_factors_11_4_wgs_64_tpt_4_halfLds_dp_ip_CI_unitstride_sbrr_dirReg, .Lfunc_end0-fft_rtc_back_len44_factors_11_4_wgs_64_tpt_4_halfLds_dp_ip_CI_unitstride_sbrr_dirReg
                                        ; -- End function
	.section	.AMDGPU.csdata,"",@progbits
; Kernel info:
; codeLenInByte = 5224
; NumSgprs: 38
; NumVgprs: 138
; ScratchSize: 0
; MemoryBound: 1
; FloatMode: 240
; IeeeMode: 1
; LDSByteSize: 0 bytes/workgroup (compile time only)
; SGPRBlocks: 4
; VGPRBlocks: 17
; NumSGPRsForWavesPerEU: 38
; NumVGPRsForWavesPerEU: 138
; Occupancy: 7
; WaveLimiterHint : 1
; COMPUTE_PGM_RSRC2:SCRATCH_EN: 0
; COMPUTE_PGM_RSRC2:USER_SGPR: 6
; COMPUTE_PGM_RSRC2:TRAP_HANDLER: 0
; COMPUTE_PGM_RSRC2:TGID_X_EN: 1
; COMPUTE_PGM_RSRC2:TGID_Y_EN: 0
; COMPUTE_PGM_RSRC2:TGID_Z_EN: 0
; COMPUTE_PGM_RSRC2:TIDIG_COMP_CNT: 0
	.text
	.p2alignl 6, 3214868480
	.fill 48, 4, 3214868480
	.type	__hip_cuid_109e5e54987acdea,@object ; @__hip_cuid_109e5e54987acdea
	.section	.bss,"aw",@nobits
	.globl	__hip_cuid_109e5e54987acdea
__hip_cuid_109e5e54987acdea:
	.byte	0                               ; 0x0
	.size	__hip_cuid_109e5e54987acdea, 1

	.ident	"AMD clang version 19.0.0git (https://github.com/RadeonOpenCompute/llvm-project roc-6.4.0 25133 c7fe45cf4b819c5991fe208aaa96edf142730f1d)"
	.section	".note.GNU-stack","",@progbits
	.addrsig
	.addrsig_sym __hip_cuid_109e5e54987acdea
	.amdgpu_metadata
---
amdhsa.kernels:
  - .args:
      - .actual_access:  read_only
        .address_space:  global
        .offset:         0
        .size:           8
        .value_kind:     global_buffer
      - .offset:         8
        .size:           8
        .value_kind:     by_value
      - .actual_access:  read_only
        .address_space:  global
        .offset:         16
        .size:           8
        .value_kind:     global_buffer
      - .actual_access:  read_only
        .address_space:  global
        .offset:         24
        .size:           8
        .value_kind:     global_buffer
      - .offset:         32
        .size:           8
        .value_kind:     by_value
      - .actual_access:  read_only
        .address_space:  global
        .offset:         40
        .size:           8
        .value_kind:     global_buffer
      - .actual_access:  read_only
        .address_space:  global
        .offset:         48
        .size:           8
        .value_kind:     global_buffer
      - .offset:         56
        .size:           4
        .value_kind:     by_value
      - .actual_access:  read_only
        .address_space:  global
        .offset:         64
        .size:           8
        .value_kind:     global_buffer
      - .actual_access:  read_only
        .address_space:  global
        .offset:         72
        .size:           8
        .value_kind:     global_buffer
      - .address_space:  global
        .offset:         80
        .size:           8
        .value_kind:     global_buffer
    .group_segment_fixed_size: 0
    .kernarg_segment_align: 8
    .kernarg_segment_size: 88
    .language:       OpenCL C
    .language_version:
      - 2
      - 0
    .max_flat_workgroup_size: 64
    .name:           fft_rtc_back_len44_factors_11_4_wgs_64_tpt_4_halfLds_dp_ip_CI_unitstride_sbrr_dirReg
    .private_segment_fixed_size: 0
    .sgpr_count:     38
    .sgpr_spill_count: 0
    .symbol:         fft_rtc_back_len44_factors_11_4_wgs_64_tpt_4_halfLds_dp_ip_CI_unitstride_sbrr_dirReg.kd
    .uniform_work_group_size: 1
    .uses_dynamic_stack: false
    .vgpr_count:     138
    .vgpr_spill_count: 0
    .wavefront_size: 32
    .workgroup_processor_mode: 1
amdhsa.target:   amdgcn-amd-amdhsa--gfx1030
amdhsa.version:
  - 1
  - 2
...

	.end_amdgpu_metadata
